;; amdgpu-corpus repo=zjin-lcf/HeCBench kind=compiled arch=gfx1100 opt=O3
	.text
	.amdgcn_target "amdgcn-amd-amdhsa--gfx1100"
	.amdhsa_code_object_version 6
	.protected	_Z9FSMKerneliPKtPiPjPhS3_S1_S1_S1_ ; -- Begin function _Z9FSMKerneliPKtPiPjPhS3_S1_S1_S1_
	.globl	_Z9FSMKerneliPKtPiPjPhS3_S1_S1_S1_
	.p2align	8
	.type	_Z9FSMKerneliPKtPiPjPhS3_S1_S1_S1_,@function
_Z9FSMKerneliPKtPiPjPhS3_S1_S1_S1_:     ; @_Z9FSMKerneliPKtPiPjPhS3_S1_S1_S1_
; %bb.0:
	s_mov_b32 s20, s15
	s_clause 0x1
	s_load_b256 s[4:11], s[0:1], 0x8
	s_load_b256 s[12:19], s[0:1], 0x28
	v_cmp_eq_u32_e64 s2, 0, v0
	s_mov_b32 s23, 0
	s_delay_alu instid0(SALU_CYCLE_1) | instskip(NEXT) | instid1(VALU_DEP_1)
	s_mov_b32 s21, s23
	s_and_saveexec_b32 s3, s2
	s_cbranch_execz .LBB0_2
; %bb.1:
	s_waitcnt lgkmcnt(0)
	s_add_u32 s24, s12, s20
	s_addc_u32 s25, s13, 0
	s_lshl_b64 s[26:27], s[20:21], 2
	v_mov_b32_e32 v1, 0
	s_add_u32 s26, s18, s26
	s_addc_u32 s27, s19, s27
	s_clause 0x1
	global_store_b32 v1, v1, s[26:27]
	global_store_b8 v1, v1, s[24:25]
.LBB0_2:
	s_or_b32 exec_lo, exec_lo, s3
	s_waitcnt lgkmcnt(0)
	s_waitcnt_vscnt null, 0x0
	s_barrier
	buffer_gl0_inv
	s_load_b32 s3, s[0:1], 0x54
	s_mov_b32 s26, 0x84ee0be9
	s_mov_b32 s22, 0x309c3efd
	;; [unrolled: 1-line block ×6, first 2 shown]
	v_lshlrev_b32_e32 v7, 4, v0
	s_waitcnt lgkmcnt(0)
	s_and_b32 s3, s3, 0xffff
	s_delay_alu instid0(SALU_CYCLE_1) | instskip(SKIP_3) | instid1(VALU_DEP_1)
	v_mad_u64_u32 v[1:2], null, s20, s3, v[0:1]
	s_load_b32 s3, s[0:1], 0x0
	s_mov_b32 s0, 0x28a171f5
	s_mov_b32 s1, 0x6dc9da11
	v_xor_b32_e32 v15, 0x4d2, v1
	v_ashrrev_i32_e32 v2, 31, v1
	s_delay_alu instid0(VALU_DEP_2)
	v_mad_u64_u32 v[3:4], null, 0x1984a2d, v15, 1
	v_mad_u64_u32 v[4:5], null, v15, s26, 0x1984a2e
	;; [unrolled: 1-line block ×7, first 2 shown]
	v_and_b32_e32 v5, 7, v5
	v_mad_u64_u32 v[12:13], null, v15, s27, 0x5e9248d8
	v_mad_u64_u32 v[13:14], null, v15, s28, 0x1053df9
	v_and_b32_e32 v6, 7, v9
	v_and_b32_e32 v4, 7, v4
	v_lshlrev_b16 v5, 8, v5
	v_and_b32_e32 v8, 7, v8
	v_and_b32_e32 v9, 7, v10
	v_lshlrev_b16 v6, 8, v6
	v_and_b32_e32 v10, 7, v11
	v_and_b32_e32 v11, 7, v13
	v_or_b32_e32 v4, v4, v5
	s_mov_b32 s1, 0x87f92995
	v_or_b32_e32 v5, v8, v6
	v_lshlrev_b16 v6, 8, v10
	v_lshlrev_b16 v8, 8, v11
	v_and_b32_e32 v10, 0x7fffffff, v3
	v_and_b32_e32 v11, 0xffff, v4
	v_mad_u64_u32 v[3:4], null, v15, s1, 0x2a8564cf
	s_mov_b32 s1, 0xf3163f9d
	v_lshlrev_b32_e32 v13, 16, v5
	v_mad_u64_u32 v[4:5], null, v15, s1, 0xffffffffe4c7ef95
	s_mov_b32 s0, 0xb3d78609
	v_and_b32_e32 v12, 7, v12
	v_or_b32_e32 v14, v9, v6
	v_mad_u64_u32 v[5:6], null, v15, s0, 0x76addec6
	v_and_b32_e32 v3, 7, v3
	v_and_b32_e32 v4, 7, v4
	s_mov_b32 s0, 0x32496131
	s_mov_b32 s1, 0x4bf1a4e5
	v_or_b32_e32 v12, v12, v8
	v_mad_u64_u32 v[8:9], null, v15, s0, 0xffffffff87f92994
	v_or_b32_e32 v9, v11, v13
	v_and_b32_e32 v13, 0xffff, v14
	v_lshlrev_b16 v14, 8, v3
	v_lshlrev_b16 v16, 8, v4
	v_mad_u64_u32 v[3:4], null, v15, s1, 0x6362bfcb
	s_mov_b32 s1, 0x1c2e41
	v_and_b32_e32 v11, 7, v5
	v_mad_u64_u32 v[4:5], null, v10, s1, 0xffffffffaf5464b0
	s_mov_b32 s0, 0x8b849099
	v_lshlrev_b64 v[1:2], 2, v[1:2]
	v_mad_u64_u32 v[5:6], null, v15, s0, 0xffffffffd7de2f32
	v_or_b32_e32 v6, v11, v14
	v_mad_u64_u32 v[10:11], null, v15, s1, 0xffffffffaf5464b0
	v_and_b32_e32 v3, 7, v3
	v_and_b32_e32 v11, 7, v4
	;; [unrolled: 1-line block ×4, first 2 shown]
	s_waitcnt lgkmcnt(0)
	s_cmp_gt_i32 s3, 0
	v_lshlrev_b16 v3, 8, v3
	v_and_b32_e32 v14, 7, v10
	v_lshlrev_b16 v15, 8, v11
	s_cselect_b32 s27, -1, 0
	s_lshl_b64 s[0:1], s[20:21], 2
	v_add_co_u32 v1, vcc_lo, s8, v1
	s_add_u32 s8, s14, s0
	v_add_co_ci_u32_e32 v2, vcc_lo, s9, v2, vcc_lo
	v_or_b32_e32 v8, v8, v16
	v_or_b32_e32 v3, v5, v3
	;; [unrolled: 1-line block ×3, first 2 shown]
	s_addc_u32 s9, s15, s1
	s_add_u32 s14, s16, s0
	s_addc_u32 s15, s17, s1
	s_add_u32 s12, s12, s20
	s_addc_u32 s13, s13, 0
	v_lshlrev_b32_e32 v12, 16, v12
	v_and_b32_e32 v6, 0xffff, v6
	v_lshlrev_b32_e32 v8, 16, v8
	v_and_b32_e32 v3, 0xffff, v3
	v_lshlrev_b32_e32 v5, 16, v5
	s_add_u32 s16, s18, s0
	s_addc_u32 s17, s19, s1
	s_and_b32 s28, s3, 7
	s_cmp_gt_u32 s3, 7
	v_or_b32_e32 v10, v13, v12
	s_cselect_b32 s29, -1, 0
	s_and_b32 s30, s3, 0x7ffffff8
	v_or_b32_e32 v11, v6, v8
	v_and_b32_e32 v4, 0x7fffffff, v4
	v_or_b32_e32 v12, v3, v5
	v_mov_b32_e32 v3, 16
	s_cmp_lg_u32 s28, 0
	v_mov_b32_e32 v8, 0
	s_cselect_b32 s31, -1, 0
	s_add_u32 s18, s4, 14
	s_mov_b64 s[24:25], 0x8000
	s_addc_u32 s19, s5, 0
	ds_store_b128 v7, v[9:12]
	global_store_b32 v[1:2], v4, off
	s_branch .LBB0_4
.LBB0_3:                                ;   in Loop: Header=BB0_4 Depth=1
	s_or_b32 exec_lo, exec_lo, s22
	global_load_u8 v3, v8, s[12:13]
	s_mov_b64 s[24:25], 0x8000
	global_store_b32 v[1:2], v11, off
	s_waitcnt vmcnt(0)
	v_cmp_eq_u16_e32 vcc_lo, 0, v3
	v_mov_b32_e32 v3, 16
	s_cbranch_vccz .LBB0_106
.LBB0_4:                                ; =>This Loop Header: Depth=1
                                        ;     Child Loop BB0_8 Depth 2
                                        ;     Child Loop BB0_12 Depth 2
	;; [unrolled: 1-line block ×5, first 2 shown]
	scratch_store_b32 v3, v8, off
	s_add_u32 s24, s24, -4
	v_add_nc_u32_e32 v3, 4, v3
	s_addc_u32 s25, s25, -1
	s_delay_alu instid0(SALU_CYCLE_1)
	s_cmp_lg_u64 s[24:25], 0
	s_cbranch_scc1 .LBB0_4
; %bb.5:                                ;   in Loop: Header=BB0_4 Depth=1
	v_mov_b32_e32 v3, 0
	s_and_not1_b32 vcc_lo, exec_lo, s27
	s_mov_b32 s22, 0
	s_cbranch_vccnz .LBB0_14
; %bb.6:                                ;   in Loop: Header=BB0_4 Depth=1
	v_mov_b32_e32 v3, 0
	s_and_not1_b32 vcc_lo, exec_lo, s29
	s_mov_b32 s0, 0
	s_cbranch_vccnz .LBB0_10
; %bb.7:                                ;   in Loop: Header=BB0_4 Depth=1
	v_mov_b32_e32 v3, 0
	s_mov_b64 s[0:1], s[18:19]
.LBB0_8:                                ;   Parent Loop BB0_4 Depth=1
                                        ; =>  This Inner Loop Header: Depth=2
	global_load_b128 v[9:12], v8, s[0:1] offset:-14
	s_add_i32 s22, s22, 8
	s_waitcnt vmcnt(0)
	v_readfirstlane_b32 s24, v9
	s_delay_alu instid0(VALU_DEP_1)
	s_bfe_u32 s25, s24, 0xf0001
	s_and_b32 s33, s24, 1
	s_add_i32 s25, s25, 16
	scratch_load_u8 v4, off, s25
	s_waitcnt vmcnt(0)
	v_lshl_or_b32 v5, v4, 1, s33
	s_lshr_b32 s33, s24, 17
	v_xor_b32_e32 v4, s24, v4
	s_add_i32 s33, s33, 16
	s_delay_alu instid0(VALU_DEP_2) | instskip(NEXT) | instid1(VALU_DEP_2)
	v_add_nc_u32_e32 v5, v7, v5
	v_and_b32_e32 v4, 1, v4
	ds_load_u8 v5, v5
	s_waitcnt lgkmcnt(0)
	scratch_store_b8 off, v5, s25
	scratch_load_u8 v5, off, s33
	s_bfe_u32 s25, s24, 0x10010
	s_waitcnt vmcnt(0)
	v_lshl_or_b32 v6, v5, 1, s25
	v_readfirstlane_b32 s25, v10
	s_delay_alu instid0(VALU_DEP_2) | instskip(NEXT) | instid1(VALU_DEP_2)
	v_add_nc_u32_e32 v6, v7, v6
	s_bfe_u32 s34, s25, 0xf0001
	s_lshr_b32 s37, s25, 16
	s_add_i32 s34, s34, 16
	ds_load_u8 v6, v6
	s_waitcnt lgkmcnt(0)
	scratch_store_b8 off, v6, s33
	scratch_load_u8 v6, off, s34
	s_and_b32 s33, s25, 1
	s_waitcnt vmcnt(0)
	v_lshl_or_b32 v9, v6, 1, s33
	s_lshr_b32 s33, s25, 17
	s_delay_alu instid0(SALU_CYCLE_1) | instskip(NEXT) | instid1(VALU_DEP_1)
	s_add_i32 s33, s33, 16
	v_add_nc_u32_e32 v9, v7, v9
	ds_load_u8 v9, v9
	s_waitcnt lgkmcnt(0)
	scratch_store_b8 off, v9, s34
	scratch_load_u8 v9, off, s33
	s_bfe_u32 s34, s25, 0x10010
	s_waitcnt vmcnt(0)
	v_lshl_or_b32 v10, v9, 1, s34
	v_readfirstlane_b32 s34, v11
	s_delay_alu instid0(VALU_DEP_2) | instskip(NEXT) | instid1(VALU_DEP_2)
	v_add_nc_u32_e32 v10, v7, v10
	s_bfe_u32 s35, s34, 0xf0001
	s_lshr_b32 s38, s34, 16
	s_add_i32 s35, s35, 16
	ds_load_u8 v10, v10
	s_waitcnt lgkmcnt(0)
	scratch_store_b8 off, v10, s33
	scratch_load_u8 v10, off, s35
	s_and_b32 s33, s34, 1
	s_waitcnt vmcnt(0)
	v_lshl_or_b32 v11, v10, 1, s33
	s_lshr_b32 s33, s34, 17
	s_delay_alu instid0(SALU_CYCLE_1) | instskip(NEXT) | instid1(VALU_DEP_1)
	s_add_i32 s33, s33, 16
	v_add_nc_u32_e32 v11, v7, v11
	ds_load_u8 v11, v11
	s_waitcnt lgkmcnt(0)
	scratch_store_b8 off, v11, s35
	scratch_load_u8 v11, off, s33
	s_bfe_u32 s35, s34, 0x10010
	s_waitcnt vmcnt(0)
	v_lshl_or_b32 v13, v11, 1, s35
	v_readfirstlane_b32 s35, v12
	s_delay_alu instid0(VALU_DEP_2) | instskip(NEXT) | instid1(VALU_DEP_2)
	v_add_nc_u32_e32 v13, v7, v13
	s_bfe_u32 s36, s35, 0xf0001
	s_bfe_u32 s40, s35, 0x10010
	s_add_i32 s36, s36, 16
	s_lshr_b32 s39, s35, 16
	ds_load_u8 v13, v13
	s_waitcnt lgkmcnt(0)
	scratch_store_b8 off, v13, s33
	scratch_load_u8 v12, off, s36
	s_and_b32 s33, s35, 1
	s_waitcnt vmcnt(0)
	v_lshl_or_b32 v13, v12, 1, s33
	s_lshr_b32 s33, s35, 17
	s_delay_alu instid0(SALU_CYCLE_1) | instskip(NEXT) | instid1(VALU_DEP_1)
	s_add_i32 s33, s33, 16
	v_add_nc_u32_e32 v13, v7, v13
	ds_load_u8 v13, v13
	s_waitcnt lgkmcnt(0)
	scratch_store_b8 off, v13, s36
	scratch_load_u8 v13, off, s33
	s_lshr_b32 s36, s24, 16
	s_add_u32 s0, s0, 16
	v_xor_b32_e32 v5, s36, v5
	s_addc_u32 s1, s1, 0
	s_cmp_eq_u32 s30, s22
	s_delay_alu instid0(VALU_DEP_1) | instskip(NEXT) | instid1(VALU_DEP_1)
	v_and_b32_e32 v5, 1, v5
	v_add3_u32 v3, v4, v3, v5
	v_xor_b32_e32 v4, s25, v6
	v_xor_b32_e32 v6, s37, v9
	;; [unrolled: 1-line block ×4, first 2 shown]
	s_delay_alu instid0(VALU_DEP_4) | instskip(NEXT) | instid1(VALU_DEP_4)
	v_and_b32_e32 v4, 1, v4
	v_and_b32_e32 v6, 1, v6
	s_delay_alu instid0(VALU_DEP_1) | instskip(SKIP_3) | instid1(VALU_DEP_2)
	v_add3_u32 v3, v4, v3, v6
	v_and_b32_e32 v4, 1, v9
	v_and_b32_e32 v6, 1, v10
	v_xor_b32_e32 v9, s35, v12
	v_add3_u32 v3, v4, v3, v6
	s_delay_alu instid0(VALU_DEP_2) | instskip(SKIP_3) | instid1(VALU_DEP_2)
	v_and_b32_e32 v4, 1, v9
	s_waitcnt vmcnt(0)
	v_lshl_or_b32 v5, v13, 1, s40
	v_xor_b32_e32 v10, s39, v13
	v_add_nc_u32_e32 v5, v7, v5
	s_delay_alu instid0(VALU_DEP_2)
	v_and_b32_e32 v6, 1, v10
	ds_load_u8 v5, v5
	v_add3_u32 v3, v4, v3, v6
	s_waitcnt lgkmcnt(0)
	scratch_store_b8 off, v5, s33
	s_cbranch_scc0 .LBB0_8
; %bb.9:                                ;   in Loop: Header=BB0_4 Depth=1
	s_mov_b32 s0, s30
.LBB0_10:                               ;   in Loop: Header=BB0_4 Depth=1
	s_and_not1_b32 vcc_lo, exec_lo, s31
	s_cbranch_vccnz .LBB0_13
; %bb.11:                               ;   in Loop: Header=BB0_4 Depth=1
	s_lshl_b32 s0, s0, 1
	s_mov_b32 s22, s28
	s_add_u32 s0, s4, s0
	s_addc_u32 s1, s5, 0
	.p2align	6
.LBB0_12:                               ;   Parent Loop BB0_4 Depth=1
                                        ; =>  This Inner Loop Header: Depth=2
	global_load_u16 v4, v8, s[0:1]
	s_add_u32 s0, s0, 2
	s_addc_u32 s1, s1, 0
	s_add_i32 s22, s22, -1
	s_delay_alu instid0(SALU_CYCLE_1) | instskip(SKIP_3) | instid1(VALU_DEP_2)
	s_cmp_lg_u32 s22, 0
	s_waitcnt vmcnt(0)
	v_lshrrev_b32_e32 v5, 1, v4
	v_and_b32_e32 v9, 1, v4
	v_add_nc_u32_e32 v5, 16, v5
	scratch_load_u8 v6, v5, off
	s_waitcnt vmcnt(0)
	v_lshl_or_b32 v9, v6, 1, v9
	v_xor_b32_e32 v4, v6, v4
	s_delay_alu instid0(VALU_DEP_2) | instskip(NEXT) | instid1(VALU_DEP_2)
	v_add_nc_u32_e32 v9, v7, v9
	v_and_b32_e32 v4, 1, v4
	ds_load_u8 v9, v9
	v_add_nc_u32_e32 v3, v4, v3
	s_waitcnt lgkmcnt(0)
	scratch_store_b8 v5, v9, off
	s_cbranch_scc1 .LBB0_12
.LBB0_13:                               ;   in Loop: Header=BB0_4 Depth=1
	s_mov_b32 s22, s3
.LBB0_14:                               ;   in Loop: Header=BB0_4 Depth=1
	s_delay_alu instid0(SALU_CYCLE_1)
	s_cmp_ge_i32 s22, s3
	s_cbranch_scc1 .LBB0_17
; %bb.15:                               ;   in Loop: Header=BB0_4 Depth=1
	s_lshl_b64 s[0:1], s[22:23], 1
	s_delay_alu instid0(SALU_CYCLE_1)
	s_add_u32 s0, s4, s0
	s_addc_u32 s1, s5, s1
	.p2align	6
.LBB0_16:                               ;   Parent Loop BB0_4 Depth=1
                                        ; =>  This Inner Loop Header: Depth=2
	global_load_u16 v4, v8, s[0:1]
	s_add_i32 s22, s22, 1
	s_add_u32 s0, s0, 2
	s_addc_u32 s1, s1, 0
	s_cmp_lt_i32 s22, s3
	s_waitcnt vmcnt(0)
	v_lshrrev_b32_e32 v5, 1, v4
	v_and_b32_e32 v9, 1, v4
	s_delay_alu instid0(VALU_DEP_2) | instskip(SKIP_4) | instid1(VALU_DEP_2)
	v_add_nc_u32_e32 v5, 16, v5
	scratch_load_u8 v6, v5, off
	s_waitcnt vmcnt(0)
	v_lshl_or_b32 v9, v6, 1, v9
	v_xor_b32_e32 v4, v6, v4
	v_add_nc_u32_e32 v9, v7, v9
	s_delay_alu instid0(VALU_DEP_2)
	v_and_b32_e32 v4, 1, v4
	ds_load_u8 v9, v9
	v_add_nc_u32_e32 v3, v4, v3
	s_waitcnt lgkmcnt(0)
	scratch_store_b8 v5, v9, off
	s_cbranch_scc1 .LBB0_16
.LBB0_17:                               ;   in Loop: Header=BB0_4 Depth=1
	s_and_saveexec_b32 s0, s2
	s_cbranch_execz .LBB0_21
; %bb.18:                               ;   in Loop: Header=BB0_4 Depth=1
	s_mov_b32 s22, exec_lo
	s_mov_b32 s1, exec_lo
	v_mbcnt_lo_u32_b32 v4, s22, 0
	s_delay_alu instid0(VALU_DEP_1)
	v_cmpx_eq_u32_e32 0, v4
	s_cbranch_execz .LBB0_20
; %bb.19:                               ;   in Loop: Header=BB0_4 Depth=1
	s_bcnt1_i32_b32 s22, s22
	s_delay_alu instid0(SALU_CYCLE_1)
	v_mov_b32_e32 v4, s22
	global_atomic_add_u32 v8, v4, s[6:7] offset:8
.LBB0_20:                               ;   in Loop: Header=BB0_4 Depth=1
	s_or_b32 exec_lo, exec_lo, s1
	s_clause 0x1
	global_store_b32 v8, v8, s[8:9]
	global_store_b32 v8, v8, s[14:15]
.LBB0_21:                               ;   in Loop: Header=BB0_4 Depth=1
	s_or_b32 exec_lo, exec_lo, s0
	v_sub_nc_u32_e32 v9, s3, v3
	s_mov_b32 s1, exec_lo
	s_brev_b32 s0, 1
	s_waitcnt lgkmcnt(0)
	s_waitcnt_vscnt null, 0x0
	s_barrier
	buffer_gl0_inv
.LBB0_22:                               ;   Parent Loop BB0_4 Depth=1
                                        ; =>  This Inner Loop Header: Depth=2
	s_ctz_i32_b32 s22, s1
	s_delay_alu instid0(SALU_CYCLE_1) | instskip(SKIP_1) | instid1(SALU_CYCLE_1)
	v_readlane_b32 s24, v9, s22
	s_lshl_b32 s22, 1, s22
	s_and_not1_b32 s1, s1, s22
	s_delay_alu instid0(VALU_DEP_1)
	s_max_i32 s0, s0, s24
	s_cmp_lg_u32 s1, 0
	s_cbranch_scc1 .LBB0_22
; %bb.23:                               ;   in Loop: Header=BB0_4 Depth=1
	v_mbcnt_lo_u32_b32 v3, exec_lo, 0
	s_mov_b32 s1, exec_lo
	s_delay_alu instid0(VALU_DEP_1)
	v_cmpx_eq_u32_e32 0, v3
	s_xor_b32 s1, exec_lo, s1
	s_cbranch_execz .LBB0_25
; %bb.24:                               ;   in Loop: Header=BB0_4 Depth=1
	v_mov_b32_e32 v3, s0
	global_atomic_max_i32 v8, v3, s[8:9]
.LBB0_25:                               ;   in Loop: Header=BB0_4 Depth=1
	s_or_b32 exec_lo, exec_lo, s1
	s_waitcnt_vscnt null, 0x0
	s_barrier
	buffer_gl0_inv
	global_load_b32 v3, v8, s[8:9]
	s_mov_b32 s0, exec_lo
	s_waitcnt vmcnt(0)
	v_cmpx_eq_u32_e64 v9, v3
	s_cbranch_execz .LBB0_30
; %bb.26:                               ;   in Loop: Header=BB0_4 Depth=1
	s_mov_b32 s22, exec_lo
	s_brev_b32 s1, 1
.LBB0_27:                               ;   Parent Loop BB0_4 Depth=1
                                        ; =>  This Inner Loop Header: Depth=2
	s_ctz_i32_b32 s24, s22
	s_delay_alu instid0(SALU_CYCLE_1) | instskip(SKIP_1) | instid1(SALU_CYCLE_1)
	v_readlane_b32 s25, v0, s24
	s_lshl_b32 s24, 1, s24
	s_and_not1_b32 s22, s22, s24
	s_delay_alu instid0(VALU_DEP_1)
	s_max_i32 s1, s1, s25
	s_cmp_lg_u32 s22, 0
	s_cbranch_scc1 .LBB0_27
; %bb.28:                               ;   in Loop: Header=BB0_4 Depth=1
	v_mbcnt_lo_u32_b32 v3, exec_lo, 0
	s_mov_b32 s22, exec_lo
	s_delay_alu instid0(VALU_DEP_1)
	v_cmpx_eq_u32_e32 0, v3
	s_xor_b32 s22, exec_lo, s22
	s_cbranch_execz .LBB0_30
; %bb.29:                               ;   in Loop: Header=BB0_4 Depth=1
	v_mov_b32_e32 v3, s1
	global_atomic_max_i32 v8, v3, s[14:15]
.LBB0_30:                               ;   in Loop: Header=BB0_4 Depth=1
	s_or_b32 exec_lo, exec_lo, s0
	s_waitcnt_vscnt null, 0x0
	s_barrier
	buffer_gl0_inv
	global_load_b32 v3, v8, s[14:15]
	s_mov_b32 s0, exec_lo
                                        ; implicit-def: $sgpr1
	s_waitcnt vmcnt(0)
	v_cmpx_ne_u32_e64 v3, v0
	s_xor_b32 s0, exec_lo, s0
	s_cbranch_execz .LBB0_32
; %bb.31:                               ;   in Loop: Header=BB0_4 Depth=1
	global_load_b32 v5, v[1:2], off
	s_waitcnt vmcnt(0)
	v_mad_u64_u32 v[3:4], null, 0x1984a2d, v5, 1
	s_delay_alu instid0(VALU_DEP_1) | instskip(SKIP_1) | instid1(VALU_DEP_2)
	v_and_b32_e32 v4, 7, v3
	v_and_b32_e32 v3, 0x7fffffff, v3
	v_cmp_ne_u32_e32 vcc_lo, 0, v4
	global_store_b32 v[1:2], v3, off
	s_and_b32 s1, vcc_lo, exec_lo
.LBB0_32:                               ;   in Loop: Header=BB0_4 Depth=1
	s_and_not1_saveexec_b32 s0, s0
	s_cbranch_execz .LBB0_36
; %bb.33:                               ;   in Loop: Header=BB0_4 Depth=1
	s_clause 0x2
	global_load_b32 v4, v8, s[16:17]
	global_load_b32 v3, v8, s[8:9]
	global_load_u8 v5, v8, s[12:13]
	s_waitcnt vmcnt(1)
	v_cmp_ge_i32_e32 vcc_lo, v4, v3
	s_waitcnt vmcnt(0)
	v_add_nc_u32_e32 v4, 1, v5
	global_store_b8 v8, v4, s[12:13]
	s_cbranch_vccnz .LBB0_35
; %bb.34:                               ;   in Loop: Header=BB0_4 Depth=1
	s_clause 0x1
	global_store_b32 v8, v3, s[16:17]
	global_store_b8 v8, v8, s[12:13]
.LBB0_35:                               ;   in Loop: Header=BB0_4 Depth=1
	s_or_b32 s1, s1, exec_lo
.LBB0_36:                               ;   in Loop: Header=BB0_4 Depth=1
	s_or_b32 exec_lo, exec_lo, s0
	s_waitcnt_vscnt null, 0x0
	s_barrier
	buffer_gl0_inv
	global_load_b32 v10, v[1:2], off
	global_load_b32 v11, v8, s[14:15]
	s_xor_b32 s22, s1, -1
	s_mov_b32 s1, 0
                                        ; implicit-def: $vgpr12
	s_waitcnt vmcnt(1)
	v_mad_u64_u32 v[5:6], null, 0x1984a2d, v10, 1
	v_mad_u64_u32 v[3:4], null, v10, s26, 0x1984a2e
	s_waitcnt vmcnt(0)
	v_cmp_eq_u32_e64 s0, v0, v11
	v_cmp_ne_u32_e32 vcc_lo, v0, v11
	v_lshlrev_b32_e32 v10, 4, v11
                                        ; implicit-def: $vgpr11
	s_and_saveexec_b32 s24, s22
	s_delay_alu instid0(SALU_CYCLE_1)
	s_xor_b32 s22, exec_lo, s24
	s_cbranch_execnz .LBB0_39
; %bb.37:                               ;   in Loop: Header=BB0_4 Depth=1
	s_and_not1_saveexec_b32 s22, s22
	s_cbranch_execnz .LBB0_58
.LBB0_38:                               ;   in Loop: Header=BB0_4 Depth=1
	s_or_b32 exec_lo, exec_lo, s22
	s_and_saveexec_b32 s22, s1
	s_cbranch_execz .LBB0_3
	s_branch .LBB0_77
.LBB0_39:                               ;   in Loop: Header=BB0_4 Depth=1
	s_and_saveexec_b32 s1, vcc_lo
	s_cbranch_execnz .LBB0_78
; %bb.40:                               ;   in Loop: Header=BB0_4 Depth=1
	s_or_b32 exec_lo, exec_lo, s1
	v_mad_u64_u32 v[4:5], null, v3, s26, 0x1984a2e
	s_and_saveexec_b32 s1, vcc_lo
	s_cbranch_execnz .LBB0_79
.LBB0_41:                               ;   in Loop: Header=BB0_4 Depth=1
	s_or_b32 exec_lo, exec_lo, s1
	s_delay_alu instid0(VALU_DEP_1)
	v_mad_u64_u32 v[5:6], null, v4, s26, 0x1984a2e
	s_and_saveexec_b32 s1, vcc_lo
	s_cbranch_execnz .LBB0_80
.LBB0_42:                               ;   in Loop: Header=BB0_4 Depth=1
	s_or_b32 exec_lo, exec_lo, s1
	s_delay_alu instid0(VALU_DEP_1)
	v_mad_u64_u32 v[3:4], null, v5, s26, 0x1984a2e
	s_and_saveexec_b32 s1, vcc_lo
	s_cbranch_execnz .LBB0_81
.LBB0_43:                               ;   in Loop: Header=BB0_4 Depth=1
	s_or_b32 exec_lo, exec_lo, s1
	s_delay_alu instid0(VALU_DEP_1)
	v_mad_u64_u32 v[4:5], null, v3, s26, 0x1984a2e
	s_and_saveexec_b32 s1, vcc_lo
	s_cbranch_execnz .LBB0_82
.LBB0_44:                               ;   in Loop: Header=BB0_4 Depth=1
	s_or_b32 exec_lo, exec_lo, s1
	s_delay_alu instid0(VALU_DEP_1)
	v_mad_u64_u32 v[5:6], null, v4, s26, 0x1984a2e
	s_and_saveexec_b32 s1, vcc_lo
	s_cbranch_execnz .LBB0_83
.LBB0_45:                               ;   in Loop: Header=BB0_4 Depth=1
	s_or_b32 exec_lo, exec_lo, s1
	s_delay_alu instid0(VALU_DEP_1)
	v_mad_u64_u32 v[3:4], null, v5, s26, 0x1984a2e
	s_and_saveexec_b32 s1, vcc_lo
	s_cbranch_execnz .LBB0_84
.LBB0_46:                               ;   in Loop: Header=BB0_4 Depth=1
	s_or_b32 exec_lo, exec_lo, s1
	s_delay_alu instid0(VALU_DEP_1)
	v_mad_u64_u32 v[4:5], null, v3, s26, 0x1984a2e
	s_and_saveexec_b32 s1, vcc_lo
	s_cbranch_execnz .LBB0_85
.LBB0_47:                               ;   in Loop: Header=BB0_4 Depth=1
	s_or_b32 exec_lo, exec_lo, s1
	s_delay_alu instid0(VALU_DEP_1)
	v_mad_u64_u32 v[5:6], null, v4, s26, 0x1984a2e
	s_and_saveexec_b32 s1, vcc_lo
	s_cbranch_execnz .LBB0_86
.LBB0_48:                               ;   in Loop: Header=BB0_4 Depth=1
	s_or_b32 exec_lo, exec_lo, s1
	s_delay_alu instid0(VALU_DEP_1)
	v_mad_u64_u32 v[3:4], null, v5, s26, 0x1984a2e
	s_and_saveexec_b32 s1, vcc_lo
	s_cbranch_execnz .LBB0_87
.LBB0_49:                               ;   in Loop: Header=BB0_4 Depth=1
	s_or_b32 exec_lo, exec_lo, s1
	s_delay_alu instid0(VALU_DEP_1)
	v_mad_u64_u32 v[4:5], null, v3, s26, 0x1984a2e
	s_and_saveexec_b32 s1, vcc_lo
	s_cbranch_execnz .LBB0_88
.LBB0_50:                               ;   in Loop: Header=BB0_4 Depth=1
	s_or_b32 exec_lo, exec_lo, s1
	s_delay_alu instid0(VALU_DEP_1)
	v_mad_u64_u32 v[5:6], null, v4, s26, 0x1984a2e
	s_and_saveexec_b32 s1, vcc_lo
	s_cbranch_execnz .LBB0_89
.LBB0_51:                               ;   in Loop: Header=BB0_4 Depth=1
	s_or_b32 exec_lo, exec_lo, s1
	s_delay_alu instid0(VALU_DEP_1)
	v_mad_u64_u32 v[3:4], null, v5, s26, 0x1984a2e
	s_and_saveexec_b32 s1, vcc_lo
	s_cbranch_execnz .LBB0_90
.LBB0_52:                               ;   in Loop: Header=BB0_4 Depth=1
	s_or_b32 exec_lo, exec_lo, s1
	s_delay_alu instid0(VALU_DEP_1)
	v_mad_u64_u32 v[5:6], null, v3, s26, 0x1984a2e
	s_and_saveexec_b32 s1, vcc_lo
	s_cbranch_execnz .LBB0_91
.LBB0_53:                               ;   in Loop: Header=BB0_4 Depth=1
	s_or_b32 exec_lo, exec_lo, s1
	s_delay_alu instid0(VALU_DEP_1)
	v_mad_u64_u32 v[3:4], null, v5, s26, 0x1984a2e
	s_and_saveexec_b32 s1, vcc_lo
	s_cbranch_execz .LBB0_55
.LBB0_54:                               ;   in Loop: Header=BB0_4 Depth=1
	ds_load_u8 v4, v10 offset:14
	v_mad_u64_u32 v[11:12], null, 0x1984a2d, v5, 1
	s_delay_alu instid0(VALU_DEP_1) | instskip(SKIP_1) | instid1(VALU_DEP_1)
	v_and_b32_e32 v5, v3, v11
	s_waitcnt lgkmcnt(0)
	v_xor_b32_e32 v4, v4, v5
	s_delay_alu instid0(VALU_DEP_1)
	v_and_b32_e32 v4, 7, v4
	ds_store_b8 v7, v4 offset:14
.LBB0_55:                               ;   in Loop: Header=BB0_4 Depth=1
	s_or_b32 exec_lo, exec_lo, s1
	s_delay_alu instid0(VALU_DEP_1) | instskip(SKIP_1) | instid1(VALU_DEP_1)
	v_mad_u64_u32 v[4:5], null, v3, s26, 0x1984a2e
	s_mov_b32 s1, 0
                                        ; implicit-def: $vgpr12
	v_and_b32_e32 v11, 0x7fffffff, v4
	s_and_saveexec_b32 s24, vcc_lo
	s_delay_alu instid0(SALU_CYCLE_1)
	s_xor_b32 s24, exec_lo, s24
	s_cbranch_execz .LBB0_57
; %bb.56:                               ;   in Loop: Header=BB0_4 Depth=1
	ds_load_u8 v10, v10 offset:15
	v_mad_u64_u32 v[5:6], null, 0x1984a2d, v3, 1
	s_mov_b32 s1, exec_lo
	s_delay_alu instid0(VALU_DEP_1) | instskip(SKIP_1) | instid1(VALU_DEP_1)
	v_and_b32_e32 v3, v4, v5
	s_waitcnt lgkmcnt(0)
	v_xor_b32_e32 v3, v10, v3
	s_delay_alu instid0(VALU_DEP_1)
	v_and_b32_e32 v12, 7, v3
.LBB0_57:                               ;   in Loop: Header=BB0_4 Depth=1
	s_or_b32 exec_lo, exec_lo, s24
	s_delay_alu instid0(SALU_CYCLE_1)
	s_and_b32 s1, s1, exec_lo
                                        ; implicit-def: $vgpr10
                                        ; implicit-def: $vgpr3_vgpr4
                                        ; implicit-def: $vgpr5_vgpr6
	s_and_not1_saveexec_b32 s22, s22
	s_cbranch_execz .LBB0_38
.LBB0_58:                               ;   in Loop: Header=BB0_4 Depth=1
	s_and_saveexec_b32 s24, vcc_lo
	s_cbranch_execnz .LBB0_92
; %bb.59:                               ;   in Loop: Header=BB0_4 Depth=1
	s_or_b32 exec_lo, exec_lo, s24
	v_mad_u64_u32 v[4:5], null, v3, s26, 0x1984a2e
	s_and_saveexec_b32 s24, vcc_lo
	s_cbranch_execnz .LBB0_93
.LBB0_60:                               ;   in Loop: Header=BB0_4 Depth=1
	s_or_b32 exec_lo, exec_lo, s24
	s_delay_alu instid0(VALU_DEP_1)
	v_mad_u64_u32 v[5:6], null, v4, s26, 0x1984a2e
	s_and_saveexec_b32 s24, vcc_lo
	s_cbranch_execnz .LBB0_94
.LBB0_61:                               ;   in Loop: Header=BB0_4 Depth=1
	s_or_b32 exec_lo, exec_lo, s24
	s_delay_alu instid0(VALU_DEP_1)
	v_mad_u64_u32 v[3:4], null, v5, s26, 0x1984a2e
	s_and_saveexec_b32 s24, vcc_lo
	s_cbranch_execnz .LBB0_95
.LBB0_62:                               ;   in Loop: Header=BB0_4 Depth=1
	s_or_b32 exec_lo, exec_lo, s24
	s_delay_alu instid0(VALU_DEP_1)
	v_mad_u64_u32 v[4:5], null, v3, s26, 0x1984a2e
	s_and_saveexec_b32 s24, vcc_lo
	s_cbranch_execnz .LBB0_96
.LBB0_63:                               ;   in Loop: Header=BB0_4 Depth=1
	s_or_b32 exec_lo, exec_lo, s24
	s_delay_alu instid0(VALU_DEP_1)
	v_mad_u64_u32 v[5:6], null, v4, s26, 0x1984a2e
	s_and_saveexec_b32 s24, vcc_lo
	s_cbranch_execnz .LBB0_97
.LBB0_64:                               ;   in Loop: Header=BB0_4 Depth=1
	s_or_b32 exec_lo, exec_lo, s24
	s_delay_alu instid0(VALU_DEP_1)
	v_mad_u64_u32 v[3:4], null, v5, s26, 0x1984a2e
	s_and_saveexec_b32 s24, vcc_lo
	s_cbranch_execnz .LBB0_98
.LBB0_65:                               ;   in Loop: Header=BB0_4 Depth=1
	s_or_b32 exec_lo, exec_lo, s24
	s_delay_alu instid0(VALU_DEP_1)
	v_mad_u64_u32 v[4:5], null, v3, s26, 0x1984a2e
	s_and_saveexec_b32 s24, vcc_lo
	s_cbranch_execnz .LBB0_99
.LBB0_66:                               ;   in Loop: Header=BB0_4 Depth=1
	s_or_b32 exec_lo, exec_lo, s24
	s_delay_alu instid0(VALU_DEP_1)
	v_mad_u64_u32 v[5:6], null, v4, s26, 0x1984a2e
	s_and_saveexec_b32 s24, vcc_lo
	s_cbranch_execnz .LBB0_100
.LBB0_67:                               ;   in Loop: Header=BB0_4 Depth=1
	s_or_b32 exec_lo, exec_lo, s24
	s_delay_alu instid0(VALU_DEP_1)
	v_mad_u64_u32 v[3:4], null, v5, s26, 0x1984a2e
	s_and_saveexec_b32 s24, vcc_lo
	s_cbranch_execnz .LBB0_101
.LBB0_68:                               ;   in Loop: Header=BB0_4 Depth=1
	s_or_b32 exec_lo, exec_lo, s24
	s_delay_alu instid0(VALU_DEP_1)
	v_mad_u64_u32 v[4:5], null, v3, s26, 0x1984a2e
	s_and_saveexec_b32 s24, vcc_lo
	s_cbranch_execnz .LBB0_102
.LBB0_69:                               ;   in Loop: Header=BB0_4 Depth=1
	s_or_b32 exec_lo, exec_lo, s24
	s_delay_alu instid0(VALU_DEP_1)
	v_mad_u64_u32 v[5:6], null, v4, s26, 0x1984a2e
	s_and_saveexec_b32 s24, vcc_lo
	s_cbranch_execnz .LBB0_103
.LBB0_70:                               ;   in Loop: Header=BB0_4 Depth=1
	s_or_b32 exec_lo, exec_lo, s24
	s_delay_alu instid0(VALU_DEP_1)
	v_mad_u64_u32 v[3:4], null, v5, s26, 0x1984a2e
	s_and_saveexec_b32 s24, vcc_lo
	s_cbranch_execnz .LBB0_104
.LBB0_71:                               ;   in Loop: Header=BB0_4 Depth=1
	s_or_b32 exec_lo, exec_lo, s24
	s_delay_alu instid0(VALU_DEP_1)
	v_mad_u64_u32 v[5:6], null, v3, s26, 0x1984a2e
	s_and_saveexec_b32 s24, vcc_lo
	s_cbranch_execnz .LBB0_105
.LBB0_72:                               ;   in Loop: Header=BB0_4 Depth=1
	s_or_b32 exec_lo, exec_lo, s24
	s_delay_alu instid0(VALU_DEP_1)
	v_mad_u64_u32 v[3:4], null, v5, s26, 0x1984a2e
	s_and_saveexec_b32 s24, vcc_lo
	s_cbranch_execz .LBB0_74
.LBB0_73:                               ;   in Loop: Header=BB0_4 Depth=1
	ds_load_u8 v4, v7 offset:14
	ds_load_u8 v6, v10 offset:14
	v_mad_u64_u32 v[11:12], null, 0x1984a2d, v5, 1
	s_delay_alu instid0(VALU_DEP_1) | instskip(SKIP_1) | instid1(VALU_DEP_1)
	v_and_b32_e32 v5, v3, v11
	s_waitcnt lgkmcnt(0)
	v_bfi_b32 v4, v5, v4, v6
	ds_store_b8 v7, v4 offset:14
.LBB0_74:                               ;   in Loop: Header=BB0_4 Depth=1
	s_or_b32 exec_lo, exec_lo, s24
	s_delay_alu instid0(VALU_DEP_1) | instskip(SKIP_1) | instid1(VALU_DEP_1)
	v_mad_u64_u32 v[4:5], null, v3, s26, 0x1984a2e
	s_mov_b32 s24, s1
                                        ; implicit-def: $vgpr12
	v_and_b32_e32 v11, 0x7fffffff, v4
	s_and_saveexec_b32 s25, vcc_lo
	s_cbranch_execz .LBB0_76
; %bb.75:                               ;   in Loop: Header=BB0_4 Depth=1
	ds_load_u8 v6, v7 offset:15
	ds_load_u8 v10, v10 offset:15
	v_mad_u64_u32 v[4:5], null, 0x1984a2d, v3, 1
	s_or_b32 s24, s1, exec_lo
	s_delay_alu instid0(VALU_DEP_1) | instskip(SKIP_1) | instid1(VALU_DEP_1)
	v_and_b32_e32 v3, v11, v4
	s_waitcnt lgkmcnt(0)
	v_bfi_b32 v12, v3, v6, v10
.LBB0_76:                               ;   in Loop: Header=BB0_4 Depth=1
	s_or_b32 exec_lo, exec_lo, s25
	s_delay_alu instid0(SALU_CYCLE_1) | instskip(SKIP_1) | instid1(SALU_CYCLE_1)
	s_and_not1_b32 s1, s1, exec_lo
	s_and_b32 s24, s24, exec_lo
	s_or_b32 s1, s1, s24
	s_or_b32 exec_lo, exec_lo, s22
	s_and_saveexec_b32 s22, s1
	s_cbranch_execz .LBB0_3
.LBB0_77:                               ;   in Loop: Header=BB0_4 Depth=1
	ds_store_b8 v7, v12 offset:15
	s_branch .LBB0_3
.LBB0_78:                               ;   in Loop: Header=BB0_4 Depth=1
	ds_load_u8 v4, v10
	v_and_b32_e32 v5, v3, v5
	s_waitcnt lgkmcnt(0)
	s_delay_alu instid0(VALU_DEP_1) | instskip(NEXT) | instid1(VALU_DEP_1)
	v_xor_b32_e32 v4, v4, v5
	v_and_b32_e32 v4, 7, v4
	ds_store_b8 v7, v4
	s_or_b32 exec_lo, exec_lo, s1
	v_mad_u64_u32 v[4:5], null, v3, s26, 0x1984a2e
	s_and_saveexec_b32 s1, vcc_lo
	s_cbranch_execz .LBB0_41
.LBB0_79:                               ;   in Loop: Header=BB0_4 Depth=1
	ds_load_u8 v11, v10 offset:1
	v_mad_u64_u32 v[5:6], null, 0x1984a2d, v3, 1
	s_delay_alu instid0(VALU_DEP_1) | instskip(SKIP_1) | instid1(VALU_DEP_1)
	v_and_b32_e32 v3, v4, v5
	s_waitcnt lgkmcnt(0)
	v_xor_b32_e32 v3, v11, v3
	s_delay_alu instid0(VALU_DEP_1)
	v_and_b32_e32 v3, 7, v3
	ds_store_b8 v7, v3 offset:1
	s_or_b32 exec_lo, exec_lo, s1
	v_mad_u64_u32 v[5:6], null, v4, s26, 0x1984a2e
	s_and_saveexec_b32 s1, vcc_lo
	s_cbranch_execz .LBB0_42
.LBB0_80:                               ;   in Loop: Header=BB0_4 Depth=1
	ds_load_u8 v3, v10 offset:2
	v_mad_u64_u32 v[11:12], null, 0x1984a2d, v4, 1
	s_delay_alu instid0(VALU_DEP_1) | instskip(SKIP_1) | instid1(VALU_DEP_1)
	v_and_b32_e32 v4, v5, v11
	s_waitcnt lgkmcnt(0)
	v_xor_b32_e32 v3, v3, v4
	s_delay_alu instid0(VALU_DEP_1)
	v_and_b32_e32 v3, 7, v3
	ds_store_b8 v7, v3 offset:2
	s_or_b32 exec_lo, exec_lo, s1
	v_mad_u64_u32 v[3:4], null, v5, s26, 0x1984a2e
	s_and_saveexec_b32 s1, vcc_lo
	s_cbranch_execz .LBB0_43
.LBB0_81:                               ;   in Loop: Header=BB0_4 Depth=1
	ds_load_u8 v4, v10 offset:3
	v_mad_u64_u32 v[11:12], null, 0x1984a2d, v5, 1
	s_delay_alu instid0(VALU_DEP_1) | instskip(SKIP_1) | instid1(VALU_DEP_1)
	v_and_b32_e32 v5, v3, v11
	s_waitcnt lgkmcnt(0)
	v_xor_b32_e32 v4, v4, v5
	s_delay_alu instid0(VALU_DEP_1)
	v_and_b32_e32 v4, 7, v4
	ds_store_b8 v7, v4 offset:3
	s_or_b32 exec_lo, exec_lo, s1
	v_mad_u64_u32 v[4:5], null, v3, s26, 0x1984a2e
	s_and_saveexec_b32 s1, vcc_lo
	s_cbranch_execz .LBB0_44
.LBB0_82:                               ;   in Loop: Header=BB0_4 Depth=1
	ds_load_u8 v11, v10 offset:4
	v_mad_u64_u32 v[5:6], null, 0x1984a2d, v3, 1
	s_delay_alu instid0(VALU_DEP_1) | instskip(SKIP_1) | instid1(VALU_DEP_1)
	v_and_b32_e32 v3, v4, v5
	s_waitcnt lgkmcnt(0)
	v_xor_b32_e32 v3, v11, v3
	s_delay_alu instid0(VALU_DEP_1)
	v_and_b32_e32 v3, 7, v3
	ds_store_b8 v7, v3 offset:4
	s_or_b32 exec_lo, exec_lo, s1
	v_mad_u64_u32 v[5:6], null, v4, s26, 0x1984a2e
	s_and_saveexec_b32 s1, vcc_lo
	s_cbranch_execz .LBB0_45
.LBB0_83:                               ;   in Loop: Header=BB0_4 Depth=1
	ds_load_u8 v3, v10 offset:5
	v_mad_u64_u32 v[11:12], null, 0x1984a2d, v4, 1
	s_delay_alu instid0(VALU_DEP_1) | instskip(SKIP_1) | instid1(VALU_DEP_1)
	v_and_b32_e32 v4, v5, v11
	s_waitcnt lgkmcnt(0)
	v_xor_b32_e32 v3, v3, v4
	s_delay_alu instid0(VALU_DEP_1)
	v_and_b32_e32 v3, 7, v3
	ds_store_b8 v7, v3 offset:5
	s_or_b32 exec_lo, exec_lo, s1
	v_mad_u64_u32 v[3:4], null, v5, s26, 0x1984a2e
	s_and_saveexec_b32 s1, vcc_lo
	s_cbranch_execz .LBB0_46
.LBB0_84:                               ;   in Loop: Header=BB0_4 Depth=1
	ds_load_u8 v4, v10 offset:6
	v_mad_u64_u32 v[11:12], null, 0x1984a2d, v5, 1
	s_delay_alu instid0(VALU_DEP_1) | instskip(SKIP_1) | instid1(VALU_DEP_1)
	v_and_b32_e32 v5, v3, v11
	s_waitcnt lgkmcnt(0)
	v_xor_b32_e32 v4, v4, v5
	s_delay_alu instid0(VALU_DEP_1)
	v_and_b32_e32 v4, 7, v4
	ds_store_b8 v7, v4 offset:6
	s_or_b32 exec_lo, exec_lo, s1
	v_mad_u64_u32 v[4:5], null, v3, s26, 0x1984a2e
	s_and_saveexec_b32 s1, vcc_lo
	s_cbranch_execz .LBB0_47
.LBB0_85:                               ;   in Loop: Header=BB0_4 Depth=1
	ds_load_u8 v11, v10 offset:7
	v_mad_u64_u32 v[5:6], null, 0x1984a2d, v3, 1
	s_delay_alu instid0(VALU_DEP_1) | instskip(SKIP_1) | instid1(VALU_DEP_1)
	v_and_b32_e32 v3, v4, v5
	s_waitcnt lgkmcnt(0)
	v_xor_b32_e32 v3, v11, v3
	s_delay_alu instid0(VALU_DEP_1)
	v_and_b32_e32 v3, 7, v3
	ds_store_b8 v7, v3 offset:7
	s_or_b32 exec_lo, exec_lo, s1
	v_mad_u64_u32 v[5:6], null, v4, s26, 0x1984a2e
	s_and_saveexec_b32 s1, vcc_lo
	s_cbranch_execz .LBB0_48
.LBB0_86:                               ;   in Loop: Header=BB0_4 Depth=1
	ds_load_u8 v3, v10 offset:8
	v_mad_u64_u32 v[11:12], null, 0x1984a2d, v4, 1
	s_delay_alu instid0(VALU_DEP_1) | instskip(SKIP_1) | instid1(VALU_DEP_1)
	v_and_b32_e32 v4, v5, v11
	s_waitcnt lgkmcnt(0)
	v_xor_b32_e32 v3, v3, v4
	s_delay_alu instid0(VALU_DEP_1)
	v_and_b32_e32 v3, 7, v3
	ds_store_b8 v7, v3 offset:8
	s_or_b32 exec_lo, exec_lo, s1
	v_mad_u64_u32 v[3:4], null, v5, s26, 0x1984a2e
	s_and_saveexec_b32 s1, vcc_lo
	s_cbranch_execz .LBB0_49
.LBB0_87:                               ;   in Loop: Header=BB0_4 Depth=1
	ds_load_u8 v4, v10 offset:9
	v_mad_u64_u32 v[11:12], null, 0x1984a2d, v5, 1
	s_delay_alu instid0(VALU_DEP_1) | instskip(SKIP_1) | instid1(VALU_DEP_1)
	v_and_b32_e32 v5, v3, v11
	s_waitcnt lgkmcnt(0)
	v_xor_b32_e32 v4, v4, v5
	s_delay_alu instid0(VALU_DEP_1)
	v_and_b32_e32 v4, 7, v4
	ds_store_b8 v7, v4 offset:9
	s_or_b32 exec_lo, exec_lo, s1
	v_mad_u64_u32 v[4:5], null, v3, s26, 0x1984a2e
	s_and_saveexec_b32 s1, vcc_lo
	s_cbranch_execz .LBB0_50
.LBB0_88:                               ;   in Loop: Header=BB0_4 Depth=1
	ds_load_u8 v11, v10 offset:10
	v_mad_u64_u32 v[5:6], null, 0x1984a2d, v3, 1
	s_delay_alu instid0(VALU_DEP_1) | instskip(SKIP_1) | instid1(VALU_DEP_1)
	v_and_b32_e32 v3, v4, v5
	s_waitcnt lgkmcnt(0)
	v_xor_b32_e32 v3, v11, v3
	s_delay_alu instid0(VALU_DEP_1)
	v_and_b32_e32 v3, 7, v3
	ds_store_b8 v7, v3 offset:10
	s_or_b32 exec_lo, exec_lo, s1
	v_mad_u64_u32 v[5:6], null, v4, s26, 0x1984a2e
	s_and_saveexec_b32 s1, vcc_lo
	s_cbranch_execz .LBB0_51
.LBB0_89:                               ;   in Loop: Header=BB0_4 Depth=1
	ds_load_u8 v3, v10 offset:11
	v_mad_u64_u32 v[11:12], null, 0x1984a2d, v4, 1
	s_delay_alu instid0(VALU_DEP_1) | instskip(SKIP_1) | instid1(VALU_DEP_1)
	v_and_b32_e32 v4, v5, v11
	s_waitcnt lgkmcnt(0)
	v_xor_b32_e32 v3, v3, v4
	s_delay_alu instid0(VALU_DEP_1)
	v_and_b32_e32 v3, 7, v3
	ds_store_b8 v7, v3 offset:11
	s_or_b32 exec_lo, exec_lo, s1
	v_mad_u64_u32 v[3:4], null, v5, s26, 0x1984a2e
	s_and_saveexec_b32 s1, vcc_lo
	s_cbranch_execz .LBB0_52
.LBB0_90:                               ;   in Loop: Header=BB0_4 Depth=1
	ds_load_u8 v4, v10 offset:12
	v_mad_u64_u32 v[11:12], null, 0x1984a2d, v5, 1
	s_delay_alu instid0(VALU_DEP_1) | instskip(SKIP_1) | instid1(VALU_DEP_1)
	v_and_b32_e32 v5, v3, v11
	s_waitcnt lgkmcnt(0)
	v_xor_b32_e32 v4, v4, v5
	s_delay_alu instid0(VALU_DEP_1)
	v_and_b32_e32 v4, 7, v4
	ds_store_b8 v7, v4 offset:12
	s_or_b32 exec_lo, exec_lo, s1
	v_mad_u64_u32 v[5:6], null, v3, s26, 0x1984a2e
	s_and_saveexec_b32 s1, vcc_lo
	s_cbranch_execz .LBB0_53
.LBB0_91:                               ;   in Loop: Header=BB0_4 Depth=1
	ds_load_u8 v4, v10 offset:13
	v_mad_u64_u32 v[11:12], null, 0x1984a2d, v3, 1
	s_delay_alu instid0(VALU_DEP_1) | instskip(SKIP_1) | instid1(VALU_DEP_1)
	v_and_b32_e32 v3, v5, v11
	s_waitcnt lgkmcnt(0)
	v_xor_b32_e32 v3, v4, v3
	s_delay_alu instid0(VALU_DEP_1)
	v_and_b32_e32 v3, 7, v3
	ds_store_b8 v7, v3 offset:13
	s_or_b32 exec_lo, exec_lo, s1
	v_mad_u64_u32 v[3:4], null, v5, s26, 0x1984a2e
	s_and_saveexec_b32 s1, vcc_lo
	s_cbranch_execnz .LBB0_54
	s_branch .LBB0_55
.LBB0_92:                               ;   in Loop: Header=BB0_4 Depth=1
	ds_load_u8 v4, v7
	ds_load_u8 v6, v10
	v_and_b32_e32 v5, v3, v5
	s_waitcnt lgkmcnt(0)
	s_delay_alu instid0(VALU_DEP_1)
	v_bfi_b32 v4, v5, v4, v6
	ds_store_b8 v7, v4
	s_or_b32 exec_lo, exec_lo, s24
	v_mad_u64_u32 v[4:5], null, v3, s26, 0x1984a2e
	s_and_saveexec_b32 s24, vcc_lo
	s_cbranch_execz .LBB0_60
.LBB0_93:                               ;   in Loop: Header=BB0_4 Depth=1
	ds_load_u8 v11, v7 offset:1
	ds_load_u8 v12, v10 offset:1
	v_mad_u64_u32 v[5:6], null, 0x1984a2d, v3, 1
	s_delay_alu instid0(VALU_DEP_1) | instskip(SKIP_1) | instid1(VALU_DEP_1)
	v_and_b32_e32 v3, v4, v5
	s_waitcnt lgkmcnt(0)
	v_bfi_b32 v3, v3, v11, v12
	ds_store_b8 v7, v3 offset:1
	s_or_b32 exec_lo, exec_lo, s24
	v_mad_u64_u32 v[5:6], null, v4, s26, 0x1984a2e
	s_and_saveexec_b32 s24, vcc_lo
	s_cbranch_execz .LBB0_61
.LBB0_94:                               ;   in Loop: Header=BB0_4 Depth=1
	ds_load_u8 v3, v7 offset:2
	ds_load_u8 v6, v10 offset:2
	v_mad_u64_u32 v[11:12], null, 0x1984a2d, v4, 1
	s_delay_alu instid0(VALU_DEP_1) | instskip(SKIP_1) | instid1(VALU_DEP_1)
	v_and_b32_e32 v4, v5, v11
	s_waitcnt lgkmcnt(0)
	v_bfi_b32 v3, v4, v3, v6
	ds_store_b8 v7, v3 offset:2
	s_or_b32 exec_lo, exec_lo, s24
	v_mad_u64_u32 v[3:4], null, v5, s26, 0x1984a2e
	s_and_saveexec_b32 s24, vcc_lo
	s_cbranch_execz .LBB0_62
.LBB0_95:                               ;   in Loop: Header=BB0_4 Depth=1
	ds_load_u8 v4, v7 offset:3
	ds_load_u8 v6, v10 offset:3
	v_mad_u64_u32 v[11:12], null, 0x1984a2d, v5, 1
	s_delay_alu instid0(VALU_DEP_1) | instskip(SKIP_1) | instid1(VALU_DEP_1)
	v_and_b32_e32 v5, v3, v11
	s_waitcnt lgkmcnt(0)
	v_bfi_b32 v4, v5, v4, v6
	ds_store_b8 v7, v4 offset:3
	s_or_b32 exec_lo, exec_lo, s24
	v_mad_u64_u32 v[4:5], null, v3, s26, 0x1984a2e
	s_and_saveexec_b32 s24, vcc_lo
	s_cbranch_execz .LBB0_63
.LBB0_96:                               ;   in Loop: Header=BB0_4 Depth=1
	ds_load_u8 v11, v7 offset:4
	ds_load_u8 v12, v10 offset:4
	v_mad_u64_u32 v[5:6], null, 0x1984a2d, v3, 1
	s_delay_alu instid0(VALU_DEP_1) | instskip(SKIP_1) | instid1(VALU_DEP_1)
	v_and_b32_e32 v3, v4, v5
	s_waitcnt lgkmcnt(0)
	v_bfi_b32 v3, v3, v11, v12
	ds_store_b8 v7, v3 offset:4
	s_or_b32 exec_lo, exec_lo, s24
	v_mad_u64_u32 v[5:6], null, v4, s26, 0x1984a2e
	s_and_saveexec_b32 s24, vcc_lo
	s_cbranch_execz .LBB0_64
.LBB0_97:                               ;   in Loop: Header=BB0_4 Depth=1
	ds_load_u8 v3, v7 offset:5
	ds_load_u8 v6, v10 offset:5
	v_mad_u64_u32 v[11:12], null, 0x1984a2d, v4, 1
	s_delay_alu instid0(VALU_DEP_1) | instskip(SKIP_1) | instid1(VALU_DEP_1)
	v_and_b32_e32 v4, v5, v11
	s_waitcnt lgkmcnt(0)
	v_bfi_b32 v3, v4, v3, v6
	ds_store_b8 v7, v3 offset:5
	s_or_b32 exec_lo, exec_lo, s24
	v_mad_u64_u32 v[3:4], null, v5, s26, 0x1984a2e
	s_and_saveexec_b32 s24, vcc_lo
	s_cbranch_execz .LBB0_65
.LBB0_98:                               ;   in Loop: Header=BB0_4 Depth=1
	ds_load_u8 v4, v7 offset:6
	ds_load_u8 v6, v10 offset:6
	v_mad_u64_u32 v[11:12], null, 0x1984a2d, v5, 1
	s_delay_alu instid0(VALU_DEP_1) | instskip(SKIP_1) | instid1(VALU_DEP_1)
	v_and_b32_e32 v5, v3, v11
	s_waitcnt lgkmcnt(0)
	v_bfi_b32 v4, v5, v4, v6
	ds_store_b8 v7, v4 offset:6
	s_or_b32 exec_lo, exec_lo, s24
	v_mad_u64_u32 v[4:5], null, v3, s26, 0x1984a2e
	s_and_saveexec_b32 s24, vcc_lo
	s_cbranch_execz .LBB0_66
.LBB0_99:                               ;   in Loop: Header=BB0_4 Depth=1
	ds_load_u8 v11, v7 offset:7
	ds_load_u8 v12, v10 offset:7
	v_mad_u64_u32 v[5:6], null, 0x1984a2d, v3, 1
	s_delay_alu instid0(VALU_DEP_1) | instskip(SKIP_1) | instid1(VALU_DEP_1)
	v_and_b32_e32 v3, v4, v5
	s_waitcnt lgkmcnt(0)
	v_bfi_b32 v3, v3, v11, v12
	ds_store_b8 v7, v3 offset:7
	s_or_b32 exec_lo, exec_lo, s24
	v_mad_u64_u32 v[5:6], null, v4, s26, 0x1984a2e
	s_and_saveexec_b32 s24, vcc_lo
	s_cbranch_execz .LBB0_67
.LBB0_100:                              ;   in Loop: Header=BB0_4 Depth=1
	ds_load_u8 v3, v7 offset:8
	ds_load_u8 v6, v10 offset:8
	v_mad_u64_u32 v[11:12], null, 0x1984a2d, v4, 1
	s_delay_alu instid0(VALU_DEP_1) | instskip(SKIP_1) | instid1(VALU_DEP_1)
	v_and_b32_e32 v4, v5, v11
	s_waitcnt lgkmcnt(0)
	v_bfi_b32 v3, v4, v3, v6
	ds_store_b8 v7, v3 offset:8
	s_or_b32 exec_lo, exec_lo, s24
	v_mad_u64_u32 v[3:4], null, v5, s26, 0x1984a2e
	s_and_saveexec_b32 s24, vcc_lo
	s_cbranch_execz .LBB0_68
.LBB0_101:                              ;   in Loop: Header=BB0_4 Depth=1
	ds_load_u8 v4, v7 offset:9
	ds_load_u8 v6, v10 offset:9
	v_mad_u64_u32 v[11:12], null, 0x1984a2d, v5, 1
	s_delay_alu instid0(VALU_DEP_1) | instskip(SKIP_1) | instid1(VALU_DEP_1)
	v_and_b32_e32 v5, v3, v11
	s_waitcnt lgkmcnt(0)
	v_bfi_b32 v4, v5, v4, v6
	ds_store_b8 v7, v4 offset:9
	s_or_b32 exec_lo, exec_lo, s24
	v_mad_u64_u32 v[4:5], null, v3, s26, 0x1984a2e
	s_and_saveexec_b32 s24, vcc_lo
	s_cbranch_execz .LBB0_69
.LBB0_102:                              ;   in Loop: Header=BB0_4 Depth=1
	ds_load_u8 v11, v7 offset:10
	ds_load_u8 v12, v10 offset:10
	v_mad_u64_u32 v[5:6], null, 0x1984a2d, v3, 1
	s_delay_alu instid0(VALU_DEP_1) | instskip(SKIP_1) | instid1(VALU_DEP_1)
	v_and_b32_e32 v3, v4, v5
	s_waitcnt lgkmcnt(0)
	v_bfi_b32 v3, v3, v11, v12
	ds_store_b8 v7, v3 offset:10
	s_or_b32 exec_lo, exec_lo, s24
	v_mad_u64_u32 v[5:6], null, v4, s26, 0x1984a2e
	s_and_saveexec_b32 s24, vcc_lo
	s_cbranch_execz .LBB0_70
.LBB0_103:                              ;   in Loop: Header=BB0_4 Depth=1
	ds_load_u8 v3, v7 offset:11
	ds_load_u8 v6, v10 offset:11
	v_mad_u64_u32 v[11:12], null, 0x1984a2d, v4, 1
	s_delay_alu instid0(VALU_DEP_1) | instskip(SKIP_1) | instid1(VALU_DEP_1)
	v_and_b32_e32 v4, v5, v11
	s_waitcnt lgkmcnt(0)
	v_bfi_b32 v3, v4, v3, v6
	ds_store_b8 v7, v3 offset:11
	s_or_b32 exec_lo, exec_lo, s24
	v_mad_u64_u32 v[3:4], null, v5, s26, 0x1984a2e
	s_and_saveexec_b32 s24, vcc_lo
	s_cbranch_execz .LBB0_71
.LBB0_104:                              ;   in Loop: Header=BB0_4 Depth=1
	ds_load_u8 v4, v7 offset:12
	ds_load_u8 v6, v10 offset:12
	v_mad_u64_u32 v[11:12], null, 0x1984a2d, v5, 1
	s_delay_alu instid0(VALU_DEP_1) | instskip(SKIP_1) | instid1(VALU_DEP_1)
	v_and_b32_e32 v5, v3, v11
	s_waitcnt lgkmcnt(0)
	v_bfi_b32 v4, v5, v4, v6
	ds_store_b8 v7, v4 offset:12
	s_or_b32 exec_lo, exec_lo, s24
	v_mad_u64_u32 v[5:6], null, v3, s26, 0x1984a2e
	s_and_saveexec_b32 s24, vcc_lo
	s_cbranch_execz .LBB0_72
.LBB0_105:                              ;   in Loop: Header=BB0_4 Depth=1
	ds_load_u8 v4, v7 offset:13
	ds_load_u8 v6, v10 offset:13
	v_mad_u64_u32 v[11:12], null, 0x1984a2d, v3, 1
	s_delay_alu instid0(VALU_DEP_1) | instskip(SKIP_1) | instid1(VALU_DEP_1)
	v_and_b32_e32 v3, v5, v11
	s_waitcnt lgkmcnt(0)
	v_bfi_b32 v3, v3, v4, v6
	ds_store_b8 v7, v3 offset:13
	s_or_b32 exec_lo, exec_lo, s24
	v_mad_u64_u32 v[3:4], null, v5, s26, 0x1984a2e
	s_and_saveexec_b32 s24, vcc_lo
	s_cbranch_execnz .LBB0_73
	s_branch .LBB0_74
.LBB0_106:
	s_and_saveexec_b32 s1, s0
	s_cbranch_execz .LBB0_112
; %bb.107:
	s_bfe_i64 s[0:1], s[20:21], 0x200000
	s_mov_b32 s2, exec_lo
	v_add_co_u32 v0, vcc_lo, 0, s0
	v_add_co_ci_u32_e32 v1, vcc_lo, s1, v9, vcc_lo
	s_mov_b64 s[0:1], 0
.LBB0_108:                              ; =>This Inner Loop Header: Depth=1
	s_ctz_i32_b32 s3, s2
	s_delay_alu instid0(VALU_DEP_1) | instid1(SALU_CYCLE_1)
	v_readlane_b32 s5, v1, s3
	v_readlane_b32 s4, v0, s3
	s_delay_alu instid0(VALU_DEP_1) | instskip(NEXT) | instid1(VALU_DEP_1)
	v_cmp_gt_u64_e64 s8, s[0:1], s[4:5]
	s_and_b32 s8, s8, exec_lo
	s_cselect_b32 s1, s1, s5
	s_cselect_b32 s0, s0, s4
	s_lshl_b32 s3, 1, s3
	s_delay_alu instid0(SALU_CYCLE_1) | instskip(NEXT) | instid1(SALU_CYCLE_1)
	s_and_not1_b32 s2, s2, s3
	s_cmp_lg_u32 s2, 0
	s_cbranch_scc1 .LBB0_108
; %bb.109:
	v_mbcnt_lo_u32_b32 v0, exec_lo, 0
	s_mov_b32 s2, exec_lo
	s_delay_alu instid0(VALU_DEP_1)
	v_cmpx_eq_u32_e32 0, v0
	s_xor_b32 s2, exec_lo, s2
	s_cbranch_execz .LBB0_111
; %bb.110:
	v_mov_b32_e32 v0, s0
	v_dual_mov_b32 v2, 0 :: v_dual_mov_b32 v1, s1
	global_atomic_max_u64 v2, v[0:1], s[6:7]
.LBB0_111:
	s_or_b32 exec_lo, exec_lo, s2
	ds_load_b128 v[0:3], v7
	s_lshl_b32 s0, s20, 4
	v_mov_b32_e32 v4, 0
	s_ashr_i32 s1, s0, 31
	s_add_u32 s0, s10, s0
	s_addc_u32 s1, s11, s1
	s_waitcnt lgkmcnt(0)
	global_store_b128 v4, v[0:3], s[0:1]
.LBB0_112:
	s_nop 0
	s_sendmsg sendmsg(MSG_DEALLOC_VGPRS)
	s_endpgm
	.section	.rodata,"a",@progbits
	.p2align	6, 0x0
	.amdhsa_kernel _Z9FSMKerneliPKtPiPjPhS3_S1_S1_S1_
		.amdhsa_group_segment_fixed_size 4096
		.amdhsa_private_segment_fixed_size 32784
		.amdhsa_kernarg_size 328
		.amdhsa_user_sgpr_count 15
		.amdhsa_user_sgpr_dispatch_ptr 0
		.amdhsa_user_sgpr_queue_ptr 0
		.amdhsa_user_sgpr_kernarg_segment_ptr 1
		.amdhsa_user_sgpr_dispatch_id 0
		.amdhsa_user_sgpr_private_segment_size 0
		.amdhsa_wavefront_size32 1
		.amdhsa_uses_dynamic_stack 0
		.amdhsa_enable_private_segment 1
		.amdhsa_system_sgpr_workgroup_id_x 1
		.amdhsa_system_sgpr_workgroup_id_y 0
		.amdhsa_system_sgpr_workgroup_id_z 0
		.amdhsa_system_sgpr_workgroup_info 0
		.amdhsa_system_vgpr_workitem_id 0
		.amdhsa_next_free_vgpr 17
		.amdhsa_next_free_sgpr 41
		.amdhsa_reserve_vcc 1
		.amdhsa_float_round_mode_32 0
		.amdhsa_float_round_mode_16_64 0
		.amdhsa_float_denorm_mode_32 3
		.amdhsa_float_denorm_mode_16_64 3
		.amdhsa_dx10_clamp 1
		.amdhsa_ieee_mode 1
		.amdhsa_fp16_overflow 0
		.amdhsa_workgroup_processor_mode 1
		.amdhsa_memory_ordered 1
		.amdhsa_forward_progress 0
		.amdhsa_shared_vgpr_count 0
		.amdhsa_exception_fp_ieee_invalid_op 0
		.amdhsa_exception_fp_denorm_src 0
		.amdhsa_exception_fp_ieee_div_zero 0
		.amdhsa_exception_fp_ieee_overflow 0
		.amdhsa_exception_fp_ieee_underflow 0
		.amdhsa_exception_fp_ieee_inexact 0
		.amdhsa_exception_int_div_zero 0
	.end_amdhsa_kernel
	.text
.Lfunc_end0:
	.size	_Z9FSMKerneliPKtPiPjPhS3_S1_S1_S1_, .Lfunc_end0-_Z9FSMKerneliPKtPiPjPhS3_S1_S1_S1_
                                        ; -- End function
	.section	.AMDGPU.csdata,"",@progbits
; Kernel info:
; codeLenInByte = 6156
; NumSgprs: 43
; NumVgprs: 17
; ScratchSize: 32784
; MemoryBound: 0
; FloatMode: 240
; IeeeMode: 1
; LDSByteSize: 4096 bytes/workgroup (compile time only)
; SGPRBlocks: 5
; VGPRBlocks: 2
; NumSGPRsForWavesPerEU: 43
; NumVGPRsForWavesPerEU: 17
; Occupancy: 16
; WaveLimiterHint : 0
; COMPUTE_PGM_RSRC2:SCRATCH_EN: 1
; COMPUTE_PGM_RSRC2:USER_SGPR: 15
; COMPUTE_PGM_RSRC2:TRAP_HANDLER: 0
; COMPUTE_PGM_RSRC2:TGID_X_EN: 1
; COMPUTE_PGM_RSRC2:TGID_Y_EN: 0
; COMPUTE_PGM_RSRC2:TGID_Z_EN: 0
; COMPUTE_PGM_RSRC2:TIDIG_COMP_CNT: 0
	.text
	.protected	_Z9MaxKernelPiPKh       ; -- Begin function _Z9MaxKernelPiPKh
	.globl	_Z9MaxKernelPiPKh
	.p2align	8
	.type	_Z9MaxKernelPiPKh,@function
_Z9MaxKernelPiPKh:                      ; @_Z9MaxKernelPiPKh
; %bb.0:
	s_load_b128 s[0:3], s[0:1], 0x0
	v_mov_b32_e32 v20, 0
	s_waitcnt lgkmcnt(0)
	s_load_b32 s4, s[0:1], 0x0
	s_waitcnt lgkmcnt(0)
	s_lshl_b32 s4, s4, 4
	s_delay_alu instid0(SALU_CYCLE_1)
	s_ashr_i32 s5, s4, 31
	s_add_u32 s2, s2, s4
	s_addc_u32 s3, s3, s5
	global_load_b128 v[0:3], v20, s[2:3]
	s_waitcnt vmcnt(0)
	v_lshrrev_b16 v5, 8, v0
	v_lshrrev_b32_e32 v7, 24, v0
	v_and_b32_e32 v4, 0xff, v0
	v_bfe_u32 v6, v0, 16, 8
	v_lshrrev_b16 v0, 8, v1
	v_and_b32_e32 v5, 0xffff, v5
	v_lshrrev_b32_e32 v11, 24, v1
	v_and_b32_e32 v8, 0xff, v1
	v_bfe_u32 v10, v1, 16, 8
	v_lshrrev_b16 v1, 8, v2
	v_lshrrev_b32_e32 v15, 24, v2
	v_and_b32_e32 v12, 0xff, v2
	v_bfe_u32 v14, v2, 16, 8
	v_lshrrev_b16 v2, 8, v3
	v_and_b32_e32 v9, 0xffff, v0
	v_and_b32_e32 v13, 0xffff, v1
	v_lshrrev_b32_e32 v19, 24, v3
	v_and_b32_e32 v16, 0xff, v3
	v_bfe_u32 v18, v3, 16, 8
	v_and_b32_e32 v17, 0xffff, v2
	s_clause 0x3
	global_store_b128 v20, v[4:7], s[0:1] offset:12
	global_store_b128 v20, v[8:11], s[0:1] offset:28
	;; [unrolled: 1-line block ×4, first 2 shown]
	s_nop 0
	s_sendmsg sendmsg(MSG_DEALLOC_VGPRS)
	s_endpgm
	.section	.rodata,"a",@progbits
	.p2align	6, 0x0
	.amdhsa_kernel _Z9MaxKernelPiPKh
		.amdhsa_group_segment_fixed_size 0
		.amdhsa_private_segment_fixed_size 0
		.amdhsa_kernarg_size 16
		.amdhsa_user_sgpr_count 15
		.amdhsa_user_sgpr_dispatch_ptr 0
		.amdhsa_user_sgpr_queue_ptr 0
		.amdhsa_user_sgpr_kernarg_segment_ptr 1
		.amdhsa_user_sgpr_dispatch_id 0
		.amdhsa_user_sgpr_private_segment_size 0
		.amdhsa_wavefront_size32 1
		.amdhsa_uses_dynamic_stack 0
		.amdhsa_enable_private_segment 0
		.amdhsa_system_sgpr_workgroup_id_x 1
		.amdhsa_system_sgpr_workgroup_id_y 0
		.amdhsa_system_sgpr_workgroup_id_z 0
		.amdhsa_system_sgpr_workgroup_info 0
		.amdhsa_system_vgpr_workitem_id 0
		.amdhsa_next_free_vgpr 21
		.amdhsa_next_free_sgpr 6
		.amdhsa_reserve_vcc 0
		.amdhsa_float_round_mode_32 0
		.amdhsa_float_round_mode_16_64 0
		.amdhsa_float_denorm_mode_32 3
		.amdhsa_float_denorm_mode_16_64 3
		.amdhsa_dx10_clamp 1
		.amdhsa_ieee_mode 1
		.amdhsa_fp16_overflow 0
		.amdhsa_workgroup_processor_mode 1
		.amdhsa_memory_ordered 1
		.amdhsa_forward_progress 0
		.amdhsa_shared_vgpr_count 0
		.amdhsa_exception_fp_ieee_invalid_op 0
		.amdhsa_exception_fp_denorm_src 0
		.amdhsa_exception_fp_ieee_div_zero 0
		.amdhsa_exception_fp_ieee_overflow 0
		.amdhsa_exception_fp_ieee_underflow 0
		.amdhsa_exception_fp_ieee_inexact 0
		.amdhsa_exception_int_div_zero 0
	.end_amdhsa_kernel
	.text
.Lfunc_end1:
	.size	_Z9MaxKernelPiPKh, .Lfunc_end1-_Z9MaxKernelPiPKh
                                        ; -- End function
	.section	.AMDGPU.csdata,"",@progbits
; Kernel info:
; codeLenInByte = 252
; NumSgprs: 6
; NumVgprs: 21
; ScratchSize: 0
; MemoryBound: 0
; FloatMode: 240
; IeeeMode: 1
; LDSByteSize: 0 bytes/workgroup (compile time only)
; SGPRBlocks: 0
; VGPRBlocks: 2
; NumSGPRsForWavesPerEU: 6
; NumVGPRsForWavesPerEU: 21
; Occupancy: 16
; WaveLimiterHint : 1
; COMPUTE_PGM_RSRC2:SCRATCH_EN: 0
; COMPUTE_PGM_RSRC2:USER_SGPR: 15
; COMPUTE_PGM_RSRC2:TRAP_HANDLER: 0
; COMPUTE_PGM_RSRC2:TGID_X_EN: 1
; COMPUTE_PGM_RSRC2:TGID_Y_EN: 0
; COMPUTE_PGM_RSRC2:TGID_Z_EN: 0
; COMPUTE_PGM_RSRC2:TIDIG_COMP_CNT: 0
	.text
	.p2alignl 7, 3214868480
	.fill 96, 4, 3214868480
	.type	__hip_cuid_ed96f0aa22fd57b6,@object ; @__hip_cuid_ed96f0aa22fd57b6
	.section	.bss,"aw",@nobits
	.globl	__hip_cuid_ed96f0aa22fd57b6
__hip_cuid_ed96f0aa22fd57b6:
	.byte	0                               ; 0x0
	.size	__hip_cuid_ed96f0aa22fd57b6, 1

	.ident	"AMD clang version 19.0.0git (https://github.com/RadeonOpenCompute/llvm-project roc-6.4.0 25133 c7fe45cf4b819c5991fe208aaa96edf142730f1d)"
	.section	".note.GNU-stack","",@progbits
	.addrsig
	.addrsig_sym __hip_cuid_ed96f0aa22fd57b6
	.amdgpu_metadata
---
amdhsa.kernels:
  - .args:
      - .offset:         0
        .size:           4
        .value_kind:     by_value
      - .actual_access:  read_only
        .address_space:  global
        .offset:         8
        .size:           8
        .value_kind:     global_buffer
      - .address_space:  global
        .offset:         16
        .size:           8
        .value_kind:     global_buffer
      - .address_space:  global
        .offset:         24
        .size:           8
        .value_kind:     global_buffer
      - .actual_access:  write_only
        .address_space:  global
        .offset:         32
        .size:           8
        .value_kind:     global_buffer
      - .address_space:  global
        .offset:         40
        .size:           8
        .value_kind:     global_buffer
      - .address_space:  global
        .offset:         48
        .size:           8
        .value_kind:     global_buffer
      - .address_space:  global
        .offset:         56
        .size:           8
        .value_kind:     global_buffer
      - .address_space:  global
        .offset:         64
        .size:           8
        .value_kind:     global_buffer
      - .offset:         72
        .size:           4
        .value_kind:     hidden_block_count_x
      - .offset:         76
        .size:           4
        .value_kind:     hidden_block_count_y
      - .offset:         80
        .size:           4
        .value_kind:     hidden_block_count_z
      - .offset:         84
        .size:           2
        .value_kind:     hidden_group_size_x
      - .offset:         86
        .size:           2
        .value_kind:     hidden_group_size_y
      - .offset:         88
        .size:           2
        .value_kind:     hidden_group_size_z
      - .offset:         90
        .size:           2
        .value_kind:     hidden_remainder_x
      - .offset:         92
        .size:           2
        .value_kind:     hidden_remainder_y
      - .offset:         94
        .size:           2
        .value_kind:     hidden_remainder_z
      - .offset:         112
        .size:           8
        .value_kind:     hidden_global_offset_x
      - .offset:         120
        .size:           8
        .value_kind:     hidden_global_offset_y
      - .offset:         128
        .size:           8
        .value_kind:     hidden_global_offset_z
      - .offset:         136
        .size:           2
        .value_kind:     hidden_grid_dims
    .group_segment_fixed_size: 4096
    .kernarg_segment_align: 8
    .kernarg_segment_size: 328
    .language:       OpenCL C
    .language_version:
      - 2
      - 0
    .max_flat_workgroup_size: 1024
    .name:           _Z9FSMKerneliPKtPiPjPhS3_S1_S1_S1_
    .private_segment_fixed_size: 32784
    .sgpr_count:     43
    .sgpr_spill_count: 0
    .symbol:         _Z9FSMKerneliPKtPiPjPhS3_S1_S1_S1_.kd
    .uniform_work_group_size: 1
    .uses_dynamic_stack: false
    .vgpr_count:     17
    .vgpr_spill_count: 0
    .wavefront_size: 32
    .workgroup_processor_mode: 1
  - .args:
      - .address_space:  global
        .offset:         0
        .size:           8
        .value_kind:     global_buffer
      - .actual_access:  read_only
        .address_space:  global
        .offset:         8
        .size:           8
        .value_kind:     global_buffer
    .group_segment_fixed_size: 0
    .kernarg_segment_align: 8
    .kernarg_segment_size: 16
    .language:       OpenCL C
    .language_version:
      - 2
      - 0
    .max_flat_workgroup_size: 1024
    .name:           _Z9MaxKernelPiPKh
    .private_segment_fixed_size: 0
    .sgpr_count:     6
    .sgpr_spill_count: 0
    .symbol:         _Z9MaxKernelPiPKh.kd
    .uniform_work_group_size: 1
    .uses_dynamic_stack: false
    .vgpr_count:     21
    .vgpr_spill_count: 0
    .wavefront_size: 32
    .workgroup_processor_mode: 1
amdhsa.target:   amdgcn-amd-amdhsa--gfx1100
amdhsa.version:
  - 1
  - 2
...

	.end_amdgpu_metadata
